;; amdgpu-corpus repo=ROCm/rocFFT kind=compiled arch=gfx1030 opt=O3
	.text
	.amdgcn_target "amdgcn-amd-amdhsa--gfx1030"
	.amdhsa_code_object_version 6
	.protected	bluestein_single_back_len770_dim1_sp_op_CI_CI ; -- Begin function bluestein_single_back_len770_dim1_sp_op_CI_CI
	.globl	bluestein_single_back_len770_dim1_sp_op_CI_CI
	.p2align	8
	.type	bluestein_single_back_len770_dim1_sp_op_CI_CI,@function
bluestein_single_back_len770_dim1_sp_op_CI_CI: ; @bluestein_single_back_len770_dim1_sp_op_CI_CI
; %bb.0:
	s_load_dwordx4 s[0:3], s[4:5], 0x28
	v_mul_u32_u24_e32 v1, 0x254, v0
	v_mov_b32_e32 v53, 0
	v_lshrrev_b32_e32 v1, 16, v1
	v_lshl_add_u32 v52, s6, 1, v1
	s_waitcnt lgkmcnt(0)
	v_cmp_gt_u64_e32 vcc_lo, s[0:1], v[52:53]
	s_and_saveexec_b32 s0, vcc_lo
	s_cbranch_execz .LBB0_23
; %bb.1:
	v_mul_lo_u16 v2, 0x6e, v1
	s_clause 0x1
	s_load_dwordx2 s[14:15], s[4:5], 0x0
	s_load_dwordx2 s[12:13], s[4:5], 0x38
	v_and_b32_e32 v1, 1, v1
	v_sub_nc_u16 v0, v0, v2
	v_cmp_eq_u32_e32 vcc_lo, 1, v1
	v_and_b32_e32 v55, 0xffff, v0
	v_cndmask_b32_e64 v38, 0, 0x302, vcc_lo
	v_cmp_gt_u16_e32 vcc_lo, 0x46, v0
	v_lshlrev_b32_e32 v56, 3, v55
	v_lshlrev_b32_e32 v57, 3, v38
	s_and_saveexec_b32 s1, vcc_lo
	s_cbranch_execz .LBB0_3
; %bb.2:
	s_load_dwordx2 s[6:7], s[4:5], 0x18
	s_waitcnt lgkmcnt(0)
	v_add_co_u32 v16, s0, s14, v56
	v_add_co_ci_u32_e64 v17, null, s15, 0, s0
	v_add_nc_u32_e32 v47, v57, v56
	v_add_co_u32 v14, s0, 0x800, v16
	v_add_co_ci_u32_e64 v15, s0, 0, v17, s0
	v_lshl_add_u32 v48, v55, 3, v57
	v_add_nc_u32_e32 v49, 0x400, v47
	v_add_nc_u32_e32 v50, 0x800, v47
	;; [unrolled: 1-line block ×3, first 2 shown]
	s_load_dwordx4 s[8:11], s[6:7], 0x0
	s_waitcnt lgkmcnt(0)
	v_mad_u64_u32 v[0:1], null, s10, v52, 0
	v_mad_u64_u32 v[2:3], null, s8, v55, 0
	s_mul_i32 s6, s9, 0x230
	s_mul_hi_u32 s7, s8, 0x230
	s_add_i32 s7, s7, s6
	v_mad_u64_u32 v[4:5], null, s11, v52, v[1:2]
	v_mad_u64_u32 v[5:6], null, s9, v55, v[3:4]
	v_mov_b32_e32 v1, v4
	v_add_co_u32 v4, s0, 0x1000, v16
	s_clause 0x3
	global_load_dwordx2 v[6:7], v56, s[14:15]
	global_load_dwordx2 v[8:9], v56, s[14:15] offset:560
	global_load_dwordx2 v[10:11], v56, s[14:15] offset:1120
	;; [unrolled: 1-line block ×3, first 2 shown]
	v_lshlrev_b64 v[0:1], 3, v[0:1]
	v_mov_b32_e32 v3, v5
	v_add_co_ci_u32_e64 v5, s0, 0, v17, s0
	s_clause 0x3
	global_load_dwordx2 v[16:17], v[14:15], off offset:192
	global_load_dwordx2 v[18:19], v[14:15], off offset:752
	;; [unrolled: 1-line block ×4, first 2 shown]
	v_lshlrev_b64 v[2:3], 3, v[2:3]
	v_add_co_u32 v0, s0, s2, v0
	v_add_co_ci_u32_e64 v1, s0, s3, v1, s0
	s_mul_i32 s2, s8, 0x230
	v_add_co_u32 v0, s0, v0, v2
	v_add_co_ci_u32_e64 v1, s0, v1, v3, s0
	global_load_dwordx2 v[26:27], v[4:5], off offset:384
	v_add_co_u32 v2, s0, v0, s2
	v_add_co_ci_u32_e64 v3, s0, s7, v1, s0
	global_load_dwordx2 v[0:1], v[0:1], off
	v_add_co_u32 v22, s0, v2, s2
	v_add_co_ci_u32_e64 v23, s0, s7, v3, s0
	v_add_co_u32 v24, s0, v22, s2
	v_add_co_ci_u32_e64 v25, s0, s7, v23, s0
	v_add_co_u32 v28, s0, v24, s2
	v_add_co_ci_u32_e64 v29, s0, s7, v25, s0
	s_clause 0x2
	global_load_dwordx2 v[2:3], v[2:3], off
	global_load_dwordx2 v[22:23], v[22:23], off
	global_load_dwordx2 v[24:25], v[24:25], off
	v_add_co_u32 v30, s0, v28, s2
	v_add_co_ci_u32_e64 v31, s0, s7, v29, s0
	global_load_dwordx2 v[28:29], v[28:29], off
	v_add_co_u32 v32, s0, v30, s2
	v_add_co_ci_u32_e64 v33, s0, s7, v31, s0
	global_load_dwordx2 v[30:31], v[30:31], off
	;; [unrolled: 3-line block ×6, first 2 shown]
	s_clause 0x1
	global_load_dwordx2 v[43:44], v[4:5], off offset:944
	global_load_dwordx2 v[4:5], v[4:5], off offset:1504
	global_load_dwordx2 v[41:42], v[41:42], off
	s_waitcnt vmcnt(12)
	v_mul_f32_e32 v45, v1, v7
	v_mul_f32_e32 v7, v0, v7
	v_fmac_f32_e32 v45, v0, v6
	v_fma_f32 v46, v1, v6, -v7
	ds_write_b64 v48, v[45:46]
	s_waitcnt vmcnt(11)
	v_mul_f32_e32 v0, v3, v9
	v_mul_f32_e32 v1, v2, v9
	s_waitcnt vmcnt(10)
	v_mul_f32_e32 v6, v23, v11
	v_mul_f32_e32 v7, v22, v11
	v_fmac_f32_e32 v0, v2, v8
	v_fma_f32 v1, v3, v8, -v1
	s_waitcnt vmcnt(8)
	v_mul_f32_e32 v8, v29, v17
	v_mul_f32_e32 v9, v28, v17
	;; [unrolled: 1-line block ×4, first 2 shown]
	v_fmac_f32_e32 v6, v22, v10
	v_fma_f32 v7, v23, v10, -v7
	s_waitcnt vmcnt(7)
	v_mul_f32_e32 v10, v31, v19
	v_mul_f32_e32 v11, v30, v19
	v_fmac_f32_e32 v8, v28, v16
	v_fma_f32 v9, v29, v16, -v9
	v_fmac_f32_e32 v2, v24, v12
	v_fma_f32 v3, v25, v12, -v3
	s_waitcnt vmcnt(6)
	v_mul_f32_e32 v12, v33, v21
	v_mul_f32_e32 v13, v32, v21
	v_fmac_f32_e32 v10, v30, v18
	s_waitcnt vmcnt(5)
	v_mul_f32_e32 v16, v35, v15
	v_mul_f32_e32 v15, v34, v15
	v_fma_f32 v11, v31, v18, -v11
	v_fmac_f32_e32 v12, v32, v20
	v_fma_f32 v13, v33, v20, -v13
	s_waitcnt vmcnt(4)
	v_mul_f32_e32 v18, v37, v27
	v_fma_f32 v17, v35, v14, -v15
	v_mul_f32_e32 v15, v36, v27
	v_fmac_f32_e32 v16, v34, v14
	s_waitcnt vmcnt(2)
	v_mul_f32_e32 v14, v40, v44
	v_mul_f32_e32 v21, v39, v44
	s_waitcnt vmcnt(0)
	v_mul_f32_e32 v20, v42, v5
	v_mul_f32_e32 v5, v41, v5
	v_fmac_f32_e32 v18, v36, v26
	v_fma_f32 v19, v37, v26, -v15
	v_fmac_f32_e32 v14, v39, v43
	v_fma_f32 v15, v40, v43, -v21
	;; [unrolled: 2-line block ×3, first 2 shown]
	v_add_nc_u32_e32 v4, 0x1000, v47
	ds_write2_b64 v47, v[0:1], v[6:7] offset0:70 offset1:140
	ds_write2_b64 v49, v[2:3], v[8:9] offset0:82 offset1:152
	ds_write2_b64 v50, v[10:11], v[12:13] offset0:94 offset1:164
	ds_write2_b64 v51, v[16:17], v[18:19] offset0:106 offset1:176
	ds_write2_b64 v4, v[14:15], v[20:21] offset0:118 offset1:188
.LBB0_3:
	s_or_b32 exec_lo, exec_lo, s1
	v_mov_b32_e32 v18, 0
	v_mov_b32_e32 v19, 0
	s_waitcnt lgkmcnt(0)
	s_barrier
	buffer_gl0_inv
                                        ; implicit-def: $vgpr0
                                        ; implicit-def: $vgpr8
                                        ; implicit-def: $vgpr16
                                        ; implicit-def: $vgpr6
                                        ; implicit-def: $vgpr14
	s_and_saveexec_b32 s0, vcc_lo
	s_cbranch_execz .LBB0_5
; %bb.4:
	v_lshl_add_u32 v16, v38, 3, v56
	v_add_nc_u32_e32 v0, 0x800, v16
	v_add_nc_u32_e32 v8, 0x1000, v16
	ds_read2_b64 v[18:21], v16 offset1:70
	ds_read2_b64 v[12:15], v16 offset0:140 offset1:210
	ds_read2_b64 v[4:7], v0 offset0:24 offset1:94
	ds_read2_b64 v[0:3], v0 offset0:164 offset1:234
	ds_read2_b64 v[8:11], v8 offset0:48 offset1:118
	ds_read_b64 v[16:17], v16 offset:5600
.LBB0_5:
	s_or_b32 exec_lo, exec_lo, s0
	s_waitcnt lgkmcnt(5)
	v_add_f32_e32 v22, v20, v18
	v_add_f32_e32 v23, v21, v19
	s_waitcnt lgkmcnt(0)
	v_add_f32_e32 v24, v16, v20
	v_sub_f32_e32 v25, v21, v17
	v_sub_f32_e32 v20, v20, v16
	v_add_f32_e32 v22, v12, v22
	v_add_f32_e32 v23, v13, v23
	;; [unrolled: 1-line block ×3, first 2 shown]
	v_mul_f32_e32 v30, 0xbf7d64f0, v25
	v_mul_f32_e32 v29, 0xbf68dda4, v20
	v_add_f32_e32 v22, v14, v22
	v_add_f32_e32 v23, v15, v23
	v_mul_f32_e32 v26, 0xbf0a6770, v25
	v_fma_f32 v36, 0xbe11bafb, v24, -v30
	v_fmamk_f32 v35, v21, 0x3ed4b147, v29
	v_add_f32_e32 v22, v4, v22
	v_add_f32_e32 v23, v5, v23
	v_fma_f32 v29, 0x3ed4b147, v21, -v29
	v_mul_f32_e32 v28, 0xbf68dda4, v25
	v_mul_f32_e32 v27, 0xbf0a6770, v20
	v_add_f32_e32 v22, v6, v22
	v_add_f32_e32 v23, v7, v23
	v_mul_f32_e32 v31, 0xbf7d64f0, v20
	v_fma_f32 v32, 0x3f575c64, v24, -v26
	v_fmac_f32_e32 v26, 0x3f575c64, v24
	v_add_f32_e32 v22, v0, v22
	v_add_f32_e32 v23, v1, v23
	v_fma_f32 v34, 0x3ed4b147, v24, -v28
	v_fmac_f32_e32 v28, 0x3ed4b147, v24
	v_fmac_f32_e32 v30, 0xbe11bafb, v24
	v_add_f32_e32 v22, v2, v22
	v_add_f32_e32 v23, v3, v23
	v_mul_f32_e32 v37, 0xbf4178ce, v20
	v_mul_f32_e32 v20, 0xbe903f40, v20
	v_sub_f32_e32 v42, v13, v11
	v_add_f32_e32 v22, v8, v22
	v_add_f32_e32 v23, v9, v23
	v_fmamk_f32 v33, v21, 0x3f575c64, v27
	v_fma_f32 v27, 0x3f575c64, v21, -v27
	v_fmamk_f32 v40, v21, 0xbf27a4f4, v37
	v_add_f32_e32 v22, v10, v22
	v_add_f32_e32 v23, v11, v23
	v_fma_f32 v37, 0xbf27a4f4, v21, -v37
	v_fmamk_f32 v43, v21, 0xbf75a155, v20
	v_fma_f32 v20, 0xbf75a155, v21, -v20
	v_add_f32_e32 v16, v16, v22
	v_add_f32_e32 v22, v29, v19
	v_add_f32_e32 v29, v36, v18
	v_mul_f32_e32 v36, 0xbf4178ce, v25
	v_mul_f32_e32 v25, 0xbe903f40, v25
	v_add_f32_e32 v17, v17, v23
	v_fmamk_f32 v23, v21, 0xbe11bafb, v31
	v_fma_f32 v31, 0xbe11bafb, v21, -v31
	v_fma_f32 v39, 0xbf27a4f4, v24, -v36
	v_fmac_f32_e32 v36, 0xbf27a4f4, v24
	v_fma_f32 v41, 0xbf75a155, v24, -v25
	v_fmac_f32_e32 v25, 0xbf75a155, v24
	v_sub_f32_e32 v24, v12, v10
	v_add_f32_e32 v10, v10, v12
	v_mul_f32_e32 v12, 0xbf68dda4, v42
	v_add_f32_e32 v11, v11, v13
	v_add_f32_e32 v32, v32, v18
	v_mul_f32_e32 v13, 0xbf68dda4, v24
	v_add_f32_e32 v33, v33, v19
	v_add_f32_e32 v26, v26, v18
	;; [unrolled: 1-line block ×15, first 2 shown]
	v_fma_f32 v43, 0x3ed4b147, v10, -v12
	v_add_f32_e32 v18, v25, v18
	v_add_f32_e32 v19, v20, v19
	v_fmamk_f32 v20, v11, 0x3ed4b147, v13
	v_mul_f32_e32 v25, 0xbf4178ce, v42
	v_fmac_f32_e32 v12, 0x3ed4b147, v10
	v_add_f32_e32 v32, v43, v32
	v_fma_f32 v13, 0x3ed4b147, v11, -v13
	v_add_f32_e32 v20, v20, v33
	v_fma_f32 v33, 0xbf27a4f4, v10, -v25
	v_mul_f32_e32 v43, 0xbf4178ce, v24
	v_add_f32_e32 v12, v12, v26
	v_mul_f32_e32 v26, 0x3e903f40, v42
	v_add_f32_e32 v13, v13, v27
	v_add_f32_e32 v27, v33, v34
	v_fmamk_f32 v33, v11, 0xbf27a4f4, v43
	v_fmac_f32_e32 v25, 0xbf27a4f4, v10
	v_fma_f32 v34, 0xbf27a4f4, v11, -v43
	v_fma_f32 v43, 0xbf75a155, v10, -v26
	v_mul_f32_e32 v44, 0x3e903f40, v24
	v_add_f32_e32 v33, v33, v35
	v_add_f32_e32 v25, v25, v28
	;; [unrolled: 1-line block ×4, first 2 shown]
	v_fmamk_f32 v29, v11, 0xbf75a155, v44
	v_mul_f32_e32 v34, 0x3f7d64f0, v42
	v_fmac_f32_e32 v26, 0xbf75a155, v10
	v_mul_f32_e32 v35, 0x3f7d64f0, v24
	v_mul_f32_e32 v42, 0x3f0a6770, v42
	v_add_f32_e32 v23, v29, v23
	v_fma_f32 v29, 0xbe11bafb, v10, -v34
	v_add_f32_e32 v26, v26, v30
	v_fmamk_f32 v30, v11, 0xbe11bafb, v35
	v_fmac_f32_e32 v34, 0xbe11bafb, v10
	v_fma_f32 v35, 0xbe11bafb, v11, -v35
	v_add_f32_e32 v29, v29, v39
	v_fma_f32 v39, 0x3f575c64, v10, -v42
	v_add_f32_e32 v30, v30, v40
	v_mul_f32_e32 v24, 0x3f0a6770, v24
	v_add_f32_e32 v34, v34, v36
	v_sub_f32_e32 v36, v15, v9
	v_add_f32_e32 v40, v8, v14
	v_sub_f32_e32 v8, v14, v8
	v_add_f32_e32 v35, v35, v37
	v_add_f32_e32 v37, v39, v41
	v_fmamk_f32 v39, v11, 0x3f575c64, v24
	v_mul_f32_e32 v41, 0xbf7d64f0, v36
	v_fmac_f32_e32 v42, 0x3f575c64, v10
	v_fma_f32 v10, 0x3f575c64, v11, -v24
	v_add_f32_e32 v9, v9, v15
	v_mul_f32_e32 v14, 0xbf7d64f0, v8
	v_fma_f32 v43, 0xbf75a155, v11, -v44
	v_fma_f32 v11, 0xbe11bafb, v40, -v41
	v_add_f32_e32 v15, v39, v21
	v_add_f32_e32 v10, v10, v19
	v_fmamk_f32 v19, v9, 0xbe11bafb, v14
	v_mul_f32_e32 v21, 0x3e903f40, v36
	v_fma_f32 v14, 0xbe11bafb, v9, -v14
	v_mul_f32_e32 v24, 0x3e903f40, v8
	v_add_f32_e32 v11, v11, v32
	v_add_f32_e32 v19, v19, v20
	v_fma_f32 v20, 0xbf75a155, v40, -v21
	v_add_f32_e32 v13, v14, v13
	v_fmamk_f32 v14, v9, 0xbf75a155, v24
	v_mul_f32_e32 v32, 0x3f68dda4, v36
	v_fma_f32 v24, 0xbf75a155, v9, -v24
	v_add_f32_e32 v20, v20, v27
	v_fmac_f32_e32 v21, 0xbf75a155, v40
	v_add_f32_e32 v14, v14, v33
	v_fma_f32 v27, 0x3ed4b147, v40, -v32
	v_mul_f32_e32 v33, 0x3f68dda4, v8
	v_add_f32_e32 v22, v24, v22
	v_mul_f32_e32 v24, 0xbf0a6770, v36
	v_add_f32_e32 v31, v43, v31
	v_add_f32_e32 v21, v21, v25
	;; [unrolled: 1-line block ×3, first 2 shown]
	v_fmamk_f32 v27, v9, 0x3ed4b147, v33
	v_fma_f32 v28, 0x3ed4b147, v9, -v33
	v_fma_f32 v33, 0x3f575c64, v40, -v24
	v_mul_f32_e32 v39, 0xbf0a6770, v8
	v_mul_f32_e32 v8, 0xbf4178ce, v8
	v_add_f32_e32 v23, v27, v23
	v_add_f32_e32 v27, v28, v31
	;; [unrolled: 1-line block ×3, first 2 shown]
	v_fmac_f32_e32 v24, 0x3f575c64, v40
	v_fmamk_f32 v33, v9, 0xbf27a4f4, v8
	v_fmamk_f32 v29, v9, 0x3f575c64, v39
	v_mul_f32_e32 v31, 0xbf4178ce, v36
	v_add_f32_e32 v18, v42, v18
	v_add_f32_e32 v24, v24, v34
	v_sub_f32_e32 v34, v5, v3
	v_add_f32_e32 v15, v33, v15
	v_add_f32_e32 v33, v2, v4
	v_sub_f32_e32 v2, v4, v2
	v_fmac_f32_e32 v41, 0xbe11bafb, v40
	v_fmac_f32_e32 v32, 0x3ed4b147, v40
	v_add_f32_e32 v29, v29, v30
	v_fma_f32 v30, 0xbf27a4f4, v40, -v31
	v_mul_f32_e32 v4, 0xbf4178ce, v34
	v_fmac_f32_e32 v31, 0xbf27a4f4, v40
	v_fma_f32 v8, 0xbf27a4f4, v9, -v8
	v_add_f32_e32 v3, v3, v5
	v_mul_f32_e32 v5, 0xbf4178ce, v2
	v_add_f32_e32 v12, v41, v12
	v_add_f32_e32 v26, v32, v26
	v_fma_f32 v32, 0x3f575c64, v9, -v39
	v_fma_f32 v9, 0xbf27a4f4, v33, -v4
	v_add_f32_e32 v18, v31, v18
	v_add_f32_e32 v8, v8, v10
	v_mul_f32_e32 v10, 0x3f7d64f0, v34
	v_fmamk_f32 v31, v3, 0xbf27a4f4, v5
	v_fmac_f32_e32 v4, 0xbf27a4f4, v33
	v_add_f32_e32 v9, v9, v11
	v_fma_f32 v5, 0xbf27a4f4, v3, -v5
	v_fma_f32 v11, 0xbe11bafb, v33, -v10
	v_add_f32_e32 v19, v31, v19
	v_mul_f32_e32 v31, 0x3f7d64f0, v2
	v_add_f32_e32 v4, v4, v12
	v_mul_f32_e32 v12, 0xbf0a6770, v34
	v_add_f32_e32 v32, v32, v35
	v_add_f32_e32 v5, v5, v13
	v_add_f32_e32 v11, v11, v20
	v_fmamk_f32 v13, v3, 0xbe11bafb, v31
	v_fmac_f32_e32 v10, 0xbe11bafb, v33
	v_fma_f32 v20, 0xbe11bafb, v3, -v31
	v_mul_f32_e32 v31, 0xbf0a6770, v2
	v_fma_f32 v35, 0x3f575c64, v33, -v12
	v_add_f32_e32 v13, v13, v14
	v_add_f32_e32 v10, v10, v21
	;; [unrolled: 1-line block ×3, first 2 shown]
	v_fmamk_f32 v20, v3, 0x3f575c64, v31
	v_add_f32_e32 v21, v35, v25
	v_fma_f32 v25, 0x3f575c64, v3, -v31
	v_mul_f32_e32 v22, 0xbe903f40, v34
	v_fmac_f32_e32 v12, 0x3f575c64, v33
	v_add_f32_e32 v20, v20, v23
	v_mul_f32_e32 v23, 0xbe903f40, v2
	v_add_f32_e32 v35, v25, v27
	v_mul_f32_e32 v25, 0x3f68dda4, v34
	v_fma_f32 v31, 0xbf75a155, v33, -v22
	v_fmac_f32_e32 v22, 0xbf75a155, v33
	v_mul_f32_e32 v2, 0x3f68dda4, v2
	v_sub_f32_e32 v34, v7, v1
	v_fma_f32 v27, 0x3ed4b147, v33, -v25
	v_fmac_f32_e32 v25, 0x3ed4b147, v33
	v_sub_f32_e32 v33, v6, v0
	v_add_f32_e32 v12, v12, v26
	v_fmamk_f32 v26, v3, 0xbf75a155, v23
	v_add_f32_e32 v28, v31, v28
	v_fma_f32 v23, 0xbf75a155, v3, -v23
	v_add_f32_e32 v31, v22, v24
	v_fmamk_f32 v22, v3, 0x3ed4b147, v2
	v_add_f32_e32 v0, v0, v6
	v_mul_f32_e32 v6, 0xbe903f40, v34
	v_fma_f32 v2, 0x3ed4b147, v3, -v2
	v_add_f32_e32 v1, v1, v7
	v_mul_f32_e32 v3, 0xbe903f40, v33
	v_add_f32_e32 v7, v22, v15
	v_fma_f32 v15, 0xbf75a155, v0, -v6
	v_add_f32_e32 v2, v2, v8
	v_mul_f32_e32 v22, 0x3f0a6770, v34
	v_fmamk_f32 v8, v1, 0xbf75a155, v3
	v_add_f32_e32 v39, v25, v18
	v_add_f32_e32 v18, v15, v9
	v_fmac_f32_e32 v6, 0xbf75a155, v0
	v_fma_f32 v3, 0xbf75a155, v1, -v3
	v_add_f32_e32 v19, v8, v19
	v_fma_f32 v8, 0x3f575c64, v0, -v22
	v_mul_f32_e32 v9, 0x3f0a6770, v33
	v_add_f32_e32 v30, v30, v37
	v_add_f32_e32 v36, v6, v4
	v_add_f32_e32 v37, v3, v5
	v_mul_f32_e32 v3, 0xbf4178ce, v34
	v_add_f32_e32 v24, v8, v11
	v_fmamk_f32 v4, v1, 0x3f575c64, v9
	v_fma_f32 v5, 0x3f575c64, v1, -v9
	v_mul_f32_e32 v8, 0xbf4178ce, v33
	v_add_f32_e32 v32, v23, v32
	v_fma_f32 v6, 0xbf27a4f4, v0, -v3
	v_add_f32_e32 v25, v4, v13
	v_add_f32_e32 v23, v5, v14
	v_fmamk_f32 v4, v1, 0xbf27a4f4, v8
	v_mul_f32_e32 v5, 0x3f68dda4, v34
	v_add_f32_e32 v29, v26, v29
	v_add_f32_e32 v30, v27, v30
	;; [unrolled: 1-line block ×3, first 2 shown]
	v_fmac_f32_e32 v3, 0xbf27a4f4, v0
	v_fma_f32 v6, 0xbf27a4f4, v1, -v8
	v_mul_f32_e32 v8, 0x3f68dda4, v33
	v_add_f32_e32 v27, v4, v20
	v_fma_f32 v4, 0x3ed4b147, v0, -v5
	v_add_f32_e32 v20, v3, v12
	v_add_f32_e32 v21, v6, v35
	v_fmamk_f32 v3, v1, 0x3ed4b147, v8
	v_fmac_f32_e32 v5, 0x3ed4b147, v0
	v_add_f32_e32 v28, v4, v28
	v_mul_f32_e32 v4, 0xbf7d64f0, v34
	v_mul_f32_e32 v6, 0xbf7d64f0, v33
	v_fmac_f32_e32 v22, 0x3f575c64, v0
	v_add_f32_e32 v29, v3, v29
	v_add_f32_e32 v34, v5, v31
	v_fma_f32 v3, 0x3ed4b147, v1, -v8
	v_fma_f32 v5, 0xbe11bafb, v0, -v4
	v_fmamk_f32 v8, v1, 0xbe11bafb, v6
	v_fmac_f32_e32 v4, 0xbe11bafb, v0
	v_fma_f32 v0, 0xbe11bafb, v1, -v6
	v_add_f32_e32 v22, v22, v10
	v_add_f32_e32 v35, v3, v32
	v_add_f32_e32 v30, v5, v30
	v_add_f32_e32 v31, v8, v7
	v_add_f32_e32 v32, v4, v39
	v_add_f32_e32 v33, v0, v2
	v_mul_lo_u16 v62, v55, 11
	s_barrier
	buffer_gl0_inv
	s_and_saveexec_b32 s0, vcc_lo
	s_cbranch_execz .LBB0_7
; %bb.6:
	v_and_b32_e32 v0, 0xffff, v62
	v_add_lshl_u32 v0, v38, v0, 3
	ds_write2_b64 v0, v[16:17], v[18:19] offset1:1
	ds_write2_b64 v0, v[24:25], v[26:27] offset0:2 offset1:3
	ds_write2_b64 v0, v[28:29], v[30:31] offset0:4 offset1:5
	;; [unrolled: 1-line block ×4, first 2 shown]
	ds_write_b64 v0, v[36:37] offset:80
.LBB0_7:
	s_or_b32 exec_lo, exec_lo, s0
	s_clause 0x1
	s_load_dwordx2 s[2:3], s[4:5], 0x20
	s_load_dwordx2 s[4:5], s[4:5], 0x8
	v_cmp_gt_u16_e64 s0, 0x4d, v55
	v_add_lshl_u32 v58, v38, v55, 3
	s_waitcnt lgkmcnt(0)
	s_barrier
	buffer_gl0_inv
	s_and_saveexec_b32 s1, s0
	s_cbranch_execz .LBB0_9
; %bb.8:
	v_add_nc_u32_e32 v0, 0x800, v58
	v_add_nc_u32_e32 v1, 0xc00, v58
	;; [unrolled: 1-line block ×3, first 2 shown]
	ds_read2_b64 v[16:19], v58 offset1:77
	ds_read2_b64 v[24:27], v58 offset0:154 offset1:231
	ds_read2_b64 v[28:31], v0 offset0:52 offset1:129
	;; [unrolled: 1-line block ×4, first 2 shown]
.LBB0_9:
	s_or_b32 exec_lo, exec_lo, s1
	v_and_b32_e32 v0, 0xff, v55
	v_mul_lo_u16 v0, 0x75, v0
	v_lshrrev_b16 v0, 8, v0
	v_sub_nc_u16 v1, v55, v0
	v_lshrrev_b16 v1, 1, v1
	v_and_b32_e32 v1, 0x7f, v1
	v_add_nc_u16 v0, v1, v0
	v_lshrrev_b16 v60, 3, v0
	v_mul_lo_u16 v0, v60, 11
	v_sub_nc_u16 v0, v55, v0
	v_and_b32_e32 v59, 0xff, v0
	v_mad_u64_u32 v[39:40], null, 0x48, v59, s[4:5]
	s_clause 0x4
	global_load_dwordx4 v[4:7], v[39:40], off
	global_load_dwordx4 v[0:3], v[39:40], off offset:16
	global_load_dwordx4 v[12:15], v[39:40], off offset:32
	;; [unrolled: 1-line block ×3, first 2 shown]
	global_load_dwordx2 v[53:54], v[39:40], off offset:64
	s_waitcnt vmcnt(0) lgkmcnt(0)
	s_barrier
	buffer_gl0_inv
	v_mul_f32_e32 v47, v19, v5
	v_mul_f32_e32 v48, v25, v7
	;; [unrolled: 1-line block ×18, first 2 shown]
	v_fma_f32 v18, v18, v4, -v47
	v_fma_f32 v48, v24, v6, -v48
	v_fmac_f32_e32 v46, v25, v6
	v_fma_f32 v47, v26, v0, -v50
	v_fmac_f32_e32 v44, v27, v0
	;; [unrolled: 2-line block ×6, first 2 shown]
	v_fmac_f32_e32 v39, v35, v8
	v_fma_f32 v20, v20, v10, -v65
	v_fma_f32 v21, v22, v53, -v66
	v_fmac_f32_e32 v41, v23, v53
	v_fmac_f32_e32 v49, v19, v4
	v_sub_f32_e32 v19, v48, v25
	v_sub_f32_e32 v22, v20, v24
	v_add_f32_e32 v28, v48, v20
	v_sub_f32_e32 v30, v25, v48
	v_sub_f32_e32 v31, v24, v20
	v_add_f32_e32 v34, v46, v40
	;; [unrolled: 3-line block ×3, first 2 shown]
	v_add_f32_e32 v80, v44, v41
	v_add_f32_e32 v81, v27, v26
	;; [unrolled: 1-line block ×3, first 2 shown]
	v_sub_f32_e32 v32, v46, v45
	v_sub_f32_e32 v33, v40, v43
	;; [unrolled: 1-line block ×10, first 2 shown]
	v_add_f32_e32 v74, v19, v22
	v_add_f32_e32 v30, v30, v31
	;; [unrolled: 1-line block ×3, first 2 shown]
	v_fma_f32 v19, -0.5, v28, v16
	v_fma_f32 v28, -0.5, v34, v17
	;; [unrolled: 1-line block ×6, first 2 shown]
	v_sub_f32_e32 v63, v45, v43
	v_sub_f32_e32 v23, v25, v24
	;; [unrolled: 1-line block ×6, first 2 shown]
	v_add_f32_e32 v84, v25, v24
	v_add_f32_e32 v85, v45, v43
	;; [unrolled: 1-line block ×5, first 2 shown]
	v_fmamk_f32 v71, v66, 0xbf737871, v34
	v_fmac_f32_e32 v34, 0x3f737871, v66
	v_fmamk_f32 v75, v65, 0x3f737871, v35
	v_fmac_f32_e32 v35, 0xbf737871, v65
	v_fmamk_f32 v76, v68, 0xbf737871, v82
	v_fmamk_f32 v83, v70, 0x3f737871, v81
	v_sub_f32_e32 v61, v46, v40
	v_sub_f32_e32 v29, v48, v20
	v_add_f32_e32 v79, v51, v64
	v_add_f32_e32 v78, v72, v73
	v_fma_f32 v67, -0.5, v84, v16
	v_fma_f32 v80, -0.5, v85, v17
	v_fmamk_f32 v22, v63, 0xbf737871, v19
	v_fmac_f32_e32 v19, 0x3f737871, v63
	v_fmamk_f32 v51, v23, 0x3f737871, v28
	v_fmac_f32_e32 v28, 0xbf737871, v23
	v_fmac_f32_e32 v71, 0x3f167918, v68
	;; [unrolled: 1-line block ×7, first 2 shown]
	v_fmamk_f32 v50, v61, 0xbf737871, v67
	v_fmamk_f32 v64, v29, 0x3f737871, v80
	v_fmac_f32_e32 v22, 0x3f167918, v61
	v_fmac_f32_e32 v19, 0xbf167918, v61
	;; [unrolled: 1-line block ×16, first 2 shown]
	v_mul_f32_e32 v69, 0x3f737871, v75
	v_mul_f32_e32 v72, 0xbf737871, v71
	;; [unrolled: 1-line block ×6, first 2 shown]
	v_fmac_f32_e32 v50, 0x3e9e377a, v74
	v_fmac_f32_e32 v64, 0x3e9e377a, v77
	v_fmac_f32_e32 v69, 0x3e9e377a, v71
	v_fma_f32 v73, 0x3f737871, v35, -v30
	v_fma_f32 v71, 0x3f167918, v83, -v31
	v_fmac_f32_e32 v72, 0x3e9e377a, v75
	v_fma_f32 v75, 0xbf737871, v34, -v32
	v_fma_f32 v76, 0xbf167918, v76, -v33
	v_sub_f32_e32 v32, v19, v73
	v_sub_f32_e32 v34, v50, v71
	;; [unrolled: 1-line block ×6, first 2 shown]
	s_and_saveexec_b32 s1, s0
	s_cbranch_execz .LBB0_11
; %bb.10:
	v_mul_f32_e32 v70, 0x3f737871, v70
	v_mul_f32_e32 v29, 0x3f737871, v29
	;; [unrolled: 1-line block ×5, first 2 shown]
	v_sub_f32_e32 v70, v81, v70
	v_sub_f32_e32 v29, v80, v29
	v_add_f32_e32 v17, v17, v46
	v_add_f32_e32 v44, v49, v44
	v_mul_f32_e32 v61, 0x3f737871, v61
	v_sub_f32_e32 v65, v70, v65
	v_mul_f32_e32 v70, 0x3e9e377a, v77
	v_sub_f32_e32 v23, v29, v23
	v_mul_f32_e32 v66, 0x3f167918, v66
	v_add_f32_e32 v68, v82, v68
	v_add_f32_e32 v17, v17, v45
	;; [unrolled: 1-line block ×5, first 2 shown]
	v_mul_f32_e32 v63, 0x3f167918, v63
	v_mul_f32_e32 v79, 0x3e9e377a, v79
	v_add_f32_e32 v66, v66, v68
	v_mul_f32_e32 v68, 0x3e9e377a, v78
	v_add_f32_e32 v18, v18, v47
	v_add_f32_e32 v16, v16, v25
	v_add_f32_e32 v23, v23, v39
	v_add_f32_e32 v25, v67, v61
	v_add_f32_e32 v66, v79, v66
	v_add_f32_e32 v29, v68, v65
	v_add_f32_e32 v18, v18, v27
	v_add_f32_e32 v16, v16, v24
	v_add_f32_e32 v24, v23, v41
	v_add_f32_e32 v23, v63, v25
	v_mov_b32_e32 v25, 0x6e
	v_mul_f32_e32 v46, 0x3f167918, v66
	v_mul_f32_e32 v65, 0x3e9e377a, v74
	v_add_f32_e32 v42, v17, v43
	v_add_f32_e32 v18, v18, v26
	v_mul_f32_e32 v41, 0x3f167918, v29
	v_mul_u32_u24_sdwa v26, v60, v25 dst_sel:DWORD dst_unused:UNUSED_PAD src0_sel:WORD_0 src1_sel:DWORD
	v_fma_f32 v46, 0x3f4f1bbd, v29, -v46
	v_add_f32_e32 v39, v42, v40
	v_add_f32_e32 v16, v16, v20
	;; [unrolled: 1-line block ×4, first 2 shown]
	v_fmac_f32_e32 v41, 0x3f4f1bbd, v66
	v_add_nc_u32_e32 v26, v26, v59
	v_sub_f32_e32 v21, v39, v24
	v_sub_f32_e32 v20, v16, v18
	v_add_f32_e32 v25, v28, v75
	v_add_f32_e32 v29, v45, v46
	;; [unrolled: 1-line block ×5, first 2 shown]
	v_add_lshl_u32 v18, v38, v26, 3
	v_add_f32_e32 v27, v51, v72
	v_add_f32_e32 v24, v19, v73
	;; [unrolled: 1-line block ×5, first 2 shown]
	v_sub_f32_e32 v17, v45, v46
	v_sub_f32_e32 v16, v42, v41
	ds_write2_b64 v18, v[39:40], v[28:29] offset1:11
	ds_write2_b64 v18, v[26:27], v[24:25] offset0:22 offset1:33
	ds_write2_b64 v18, v[22:23], v[20:21] offset0:44 offset1:55
	;; [unrolled: 1-line block ×4, first 2 shown]
.LBB0_11:
	s_or_b32 exec_lo, exec_lo, s1
	v_mad_u64_u32 v[16:17], null, v55, 48, s[4:5]
	s_load_dwordx4 s[4:7], s[2:3], 0x0
	s_waitcnt lgkmcnt(0)
	s_barrier
	buffer_gl0_inv
	v_add_nc_u32_e32 v28, 0x400, v58
	v_add_nc_u32_e32 v29, 0xc00, v58
	s_clause 0x2
	global_load_dwordx4 v[24:27], v[16:17], off offset:792
	global_load_dwordx4 v[20:23], v[16:17], off offset:808
	global_load_dwordx4 v[16:19], v[16:17], off offset:824
	ds_read2_b64 v[38:41], v58 offset1:110
	ds_read2_b64 v[42:45], v28 offset0:92 offset1:202
	ds_read2_b64 v[46:49], v29 offset0:56 offset1:166
	ds_read_b64 v[28:29], v58 offset:5280
	v_lshl_add_u32 v61, v55, 3, v57
	v_add_nc_u32_e32 v63, 0x400, v61
	v_add_nc_u32_e32 v64, 0xc00, v61
	s_waitcnt vmcnt(2) lgkmcnt(3)
	v_mul_f32_e32 v50, v41, v25
	v_mul_f32_e32 v51, v40, v25
	s_waitcnt lgkmcnt(2)
	v_mul_f32_e32 v65, v43, v27
	v_mul_f32_e32 v66, v42, v27
	s_waitcnt vmcnt(0) lgkmcnt(1)
	v_mul_f32_e32 v71, v49, v17
	v_mul_f32_e32 v72, v48, v17
	s_waitcnt lgkmcnt(0)
	v_mul_f32_e32 v73, v29, v19
	v_mul_f32_e32 v74, v28, v19
	;; [unrolled: 1-line block ×6, first 2 shown]
	v_fma_f32 v40, v40, v24, -v50
	v_fmac_f32_e32 v51, v41, v24
	v_fma_f32 v41, v42, v26, -v65
	v_fmac_f32_e32 v66, v43, v26
	;; [unrolled: 2-line block ×6, first 2 shown]
	v_add_f32_e32 v44, v40, v28
	v_add_f32_e32 v45, v51, v74
	;; [unrolled: 1-line block ×4, first 2 shown]
	v_sub_f32_e32 v28, v40, v28
	v_sub_f32_e32 v40, v51, v74
	;; [unrolled: 1-line block ×4, first 2 shown]
	v_add_f32_e32 v48, v42, v43
	v_add_f32_e32 v49, v68, v70
	v_sub_f32_e32 v42, v43, v42
	v_sub_f32_e32 v43, v70, v68
	v_add_f32_e32 v50, v46, v44
	v_add_f32_e32 v51, v47, v45
	v_sub_f32_e32 v65, v46, v44
	v_sub_f32_e32 v66, v47, v45
	;; [unrolled: 1-line block ×6, first 2 shown]
	v_add_f32_e32 v67, v42, v29
	v_add_f32_e32 v68, v43, v41
	v_sub_f32_e32 v69, v42, v29
	v_sub_f32_e32 v70, v43, v41
	;; [unrolled: 1-line block ×4, first 2 shown]
	v_add_f32_e32 v48, v48, v50
	v_add_f32_e32 v49, v49, v51
	v_sub_f32_e32 v42, v28, v42
	v_sub_f32_e32 v43, v40, v43
	v_add_f32_e32 v28, v67, v28
	v_add_f32_e32 v50, v68, v40
	v_mul_f32_e32 v44, 0x3f4a47b2, v44
	v_mul_f32_e32 v45, 0x3f4a47b2, v45
	;; [unrolled: 1-line block ×8, first 2 shown]
	v_add_f32_e32 v40, v38, v48
	v_add_f32_e32 v41, v39, v49
	v_fmamk_f32 v38, v46, 0x3d64c772, v44
	v_fmamk_f32 v39, v47, 0x3d64c772, v45
	v_fma_f32 v46, 0x3f3bfb3b, v65, -v51
	v_fma_f32 v47, 0x3f3bfb3b, v66, -v67
	;; [unrolled: 1-line block ×4, first 2 shown]
	v_fmamk_f32 v65, v42, 0x3eae86e6, v68
	v_fmamk_f32 v66, v43, 0x3eae86e6, v69
	v_fma_f32 v29, 0x3f5ff5aa, v29, -v68
	v_fma_f32 v67, 0x3f5ff5aa, v71, -v69
	;; [unrolled: 1-line block ×4, first 2 shown]
	v_fmamk_f32 v42, v48, 0xbf955555, v40
	v_fmamk_f32 v43, v49, 0xbf955555, v41
	v_fmac_f32_e32 v65, 0x3ee1c552, v28
	v_fmac_f32_e32 v66, 0x3ee1c552, v50
	;; [unrolled: 1-line block ×6, first 2 shown]
	v_add_f32_e32 v28, v38, v42
	v_add_f32_e32 v38, v39, v43
	;; [unrolled: 1-line block ×7, first 2 shown]
	v_sub_f32_e32 v43, v38, v65
	v_add_f32_e32 v48, v69, v46
	v_sub_f32_e32 v49, v70, v68
	v_sub_f32_e32 v50, v39, v67
	v_add_f32_e32 v51, v29, v45
	v_add_f32_e32 v44, v67, v39
	v_sub_f32_e32 v45, v45, v29
	v_sub_f32_e32 v46, v46, v69
	v_add_f32_e32 v47, v68, v70
	v_sub_f32_e32 v28, v28, v66
	v_add_f32_e32 v29, v65, v38
	ds_write2_b64 v61, v[40:41], v[42:43] offset1:110
	ds_write2_b64 v63, v[48:49], v[50:51] offset0:92 offset1:202
	ds_write2_b64 v64, v[44:45], v[46:47] offset0:56 offset1:166
	ds_write_b64 v61, v[28:29] offset:5280
	s_waitcnt lgkmcnt(0)
	s_barrier
	buffer_gl0_inv
	s_and_saveexec_b32 s2, vcc_lo
	s_cbranch_execz .LBB0_13
; %bb.12:
	v_add_co_u32 v67, s1, s14, v56
	v_add_co_ci_u32_e64 v68, null, s15, 0, s1
	v_add_nc_u32_e32 v107, 0x800, v61
	v_add_co_u32 v38, s1, 0x1800, v67
	v_add_co_ci_u32_e64 v39, s1, 0, v68, s1
	v_add_co_u32 v63, s1, 0x1810, v67
	v_add_co_ci_u32_e64 v64, s1, 0, v68, s1
	;; [unrolled: 2-line block ×3, first 2 shown]
	s_clause 0x5
	global_load_dwordx2 v[38:39], v[38:39], off offset:16
	global_load_dwordx2 v[83:84], v[63:64], off offset:560
	;; [unrolled: 1-line block ×6, first 2 shown]
	v_add_co_u32 v63, s1, 0x2800, v67
	v_add_co_ci_u32_e64 v64, s1, 0, v68, s1
	s_clause 0x4
	global_load_dwordx2 v[93:94], v[65:66], off offset:1328
	global_load_dwordx2 v[95:96], v[65:66], off offset:1888
	;; [unrolled: 1-line block ×5, first 2 shown]
	ds_read2_b64 v[63:66], v61 offset1:70
	v_add_nc_u32_e32 v108, 0x1000, v61
	ds_read2_b64 v[67:70], v61 offset0:140 offset1:210
	ds_read2_b64 v[71:74], v107 offset0:24 offset1:94
	;; [unrolled: 1-line block ×4, first 2 shown]
	ds_read_b64 v[103:104], v61 offset:5600
	s_waitcnt vmcnt(9) lgkmcnt(5)
	v_mul_f32_e32 v109, v66, v84
	s_waitcnt vmcnt(8) lgkmcnt(4)
	v_mul_f32_e32 v110, v68, v86
	s_waitcnt vmcnt(7)
	v_mul_f32_e32 v111, v70, v88
	v_mul_f32_e32 v105, v64, v39
	;; [unrolled: 1-line block ×6, first 2 shown]
	s_waitcnt vmcnt(6) lgkmcnt(3)
	v_mul_f32_e32 v112, v72, v90
	v_mul_f32_e32 v88, v71, v90
	s_waitcnt vmcnt(5)
	v_mul_f32_e32 v113, v74, v92
	v_mul_f32_e32 v90, v73, v92
	s_waitcnt vmcnt(4) lgkmcnt(2)
	v_mul_f32_e32 v114, v76, v94
	v_mul_f32_e32 v92, v75, v94
	s_waitcnt vmcnt(3)
	v_mul_f32_e32 v115, v78, v96
	v_mul_f32_e32 v94, v77, v96
	;; [unrolled: 6-line block ×3, first 2 shown]
	s_waitcnt vmcnt(0) lgkmcnt(0)
	v_mul_f32_e32 v118, v104, v102
	v_mul_f32_e32 v100, v103, v102
	v_fma_f32 v105, v63, v38, -v105
	v_fmac_f32_e32 v106, v64, v38
	v_fma_f32 v38, v65, v83, -v109
	v_fmac_f32_e32 v39, v66, v83
	;; [unrolled: 2-line block ×11, first 2 shown]
	ds_write2_b64 v61, v[105:106], v[38:39] offset1:70
	ds_write2_b64 v61, v[83:84], v[85:86] offset0:140 offset1:210
	ds_write2_b64 v107, v[87:88], v[89:90] offset0:24 offset1:94
	ds_write2_b64 v107, v[91:92], v[93:94] offset0:164 offset1:234
	ds_write2_b64 v108, v[95:96], v[97:98] offset0:48 offset1:118
	ds_write_b64 v61, v[99:100] offset:5600
.LBB0_13:
	s_or_b32 exec_lo, exec_lo, s2
	s_waitcnt lgkmcnt(0)
	s_barrier
	buffer_gl0_inv
	s_and_saveexec_b32 s1, vcc_lo
	s_cbranch_execz .LBB0_15
; %bb.14:
	v_add_nc_u32_e32 v28, 0x800, v61
	v_add_nc_u32_e32 v32, 0x1000, v61
	ds_read2_b64 v[40:43], v61 offset1:70
	ds_read2_b64 v[48:51], v61 offset0:140 offset1:210
	ds_read2_b64 v[44:47], v28 offset0:24 offset1:94
	;; [unrolled: 1-line block ×4, first 2 shown]
	ds_read_b64 v[36:37], v61 offset:5600
.LBB0_15:
	s_or_b32 exec_lo, exec_lo, s1
	s_waitcnt lgkmcnt(5)
	v_add_f32_e32 v38, v42, v40
	v_add_f32_e32 v39, v43, v41
	s_waitcnt lgkmcnt(0)
	v_add_f32_e32 v66, v37, v43
	v_add_f32_e32 v64, v36, v42
	v_sub_f32_e32 v67, v43, v37
	v_add_f32_e32 v38, v48, v38
	v_add_f32_e32 v39, v49, v39
	v_sub_f32_e32 v42, v42, v36
	v_mul_f32_e32 v68, 0x3ed4b147, v66
	v_mul_f32_e32 v69, 0xbf7d64f0, v67
	v_add_f32_e32 v38, v50, v38
	v_add_f32_e32 v39, v51, v39
	v_mul_f32_e32 v70, 0xbe11bafb, v66
	v_fmamk_f32 v75, v42, 0x3f68dda4, v68
	v_fmac_f32_e32 v68, 0xbf68dda4, v42
	v_add_f32_e32 v38, v44, v38
	v_add_f32_e32 v39, v45, v39
	v_mul_f32_e32 v71, 0xbf4178ce, v67
	v_fmamk_f32 v76, v64, 0xbe11bafb, v69
	v_fmamk_f32 v77, v42, 0x3f7d64f0, v70
	v_add_f32_e32 v38, v46, v38
	v_add_f32_e32 v39, v47, v39
	v_fma_f32 v69, 0xbe11bafb, v64, -v69
	v_add_f32_e32 v78, v41, v68
	v_fmac_f32_e32 v70, 0xbf7d64f0, v42
	v_add_f32_e32 v38, v28, v38
	v_add_f32_e32 v39, v29, v39
	v_mul_f32_e32 v68, 0xbf27a4f4, v66
	v_mul_f32_e32 v63, 0xbf0a6770, v67
	;; [unrolled: 1-line block ×3, first 2 shown]
	v_add_f32_e32 v38, v30, v38
	v_add_f32_e32 v39, v31, v39
	v_mul_f32_e32 v43, 0xbf68dda4, v67
	v_add_f32_e32 v79, v41, v70
	v_mul_f32_e32 v67, 0xbe903f40, v67
	v_add_f32_e32 v38, v32, v38
	v_add_f32_e32 v39, v33, v39
	v_fma_f32 v70, 0xbf27a4f4, v64, -v71
	v_sub_f32_e32 v85, v49, v35
	v_sub_f32_e32 v86, v48, v34
	v_add_f32_e32 v38, v34, v38
	v_add_f32_e32 v39, v35, v39
	v_fmamk_f32 v72, v64, 0x3f575c64, v63
	v_fma_f32 v73, 0x3f575c64, v66, -v65
	v_fmamk_f32 v74, v64, 0x3ed4b147, v43
	v_add_f32_e32 v36, v36, v38
	v_add_f32_e32 v38, v40, v76
	;; [unrolled: 1-line block ×4, first 2 shown]
	v_fmamk_f32 v69, v42, 0x3f4178ce, v68
	v_fmac_f32_e32 v68, 0xbf4178ce, v42
	v_add_f32_e32 v37, v37, v39
	v_fmamk_f32 v39, v64, 0xbf27a4f4, v71
	v_mul_f32_e32 v80, 0xbf75a155, v66
	v_fmamk_f32 v71, v64, 0xbf75a155, v67
	v_add_f32_e32 v82, v41, v69
	v_add_f32_e32 v83, v40, v70
	;; [unrolled: 1-line block ×3, first 2 shown]
	v_fma_f32 v87, 0xbf75a155, v64, -v67
	v_add_f32_e32 v69, v34, v48
	v_add_f32_e32 v70, v35, v49
	v_mul_f32_e32 v67, 0xbf68dda4, v85
	v_mul_f32_e32 v68, 0xbf68dda4, v86
	;; [unrolled: 1-line block ×3, first 2 shown]
	v_fma_f32 v43, 0x3ed4b147, v64, -v43
	v_add_f32_e32 v72, v40, v72
	v_add_f32_e32 v73, v41, v73
	;; [unrolled: 1-line block ×3, first 2 shown]
	v_fmamk_f32 v81, v42, 0x3e903f40, v80
	v_add_f32_e32 v34, v40, v87
	v_fmac_f32_e32 v80, 0xbe903f40, v42
	v_fmamk_f32 v42, v69, 0x3ed4b147, v67
	v_fma_f32 v48, 0x3ed4b147, v70, -v68
	v_mul_f32_e32 v49, 0xbf27a4f4, v70
	v_fmamk_f32 v87, v69, 0xbf27a4f4, v35
	v_add_f32_e32 v43, v40, v43
	v_add_f32_e32 v42, v42, v72
	;; [unrolled: 1-line block ×3, first 2 shown]
	v_fmamk_f32 v72, v86, 0x3f4178ce, v49
	v_add_f32_e32 v73, v87, v74
	v_fma_f32 v35, 0xbf27a4f4, v69, -v35
	v_mul_f32_e32 v74, 0x3e903f40, v85
	v_fmac_f32_e32 v49, 0xbf4178ce, v86
	v_add_f32_e32 v75, v41, v75
	v_add_f32_e32 v39, v40, v39
	;; [unrolled: 1-line block ×3, first 2 shown]
	v_fmamk_f32 v43, v69, 0xbf75a155, v74
	v_add_f32_e32 v49, v49, v78
	v_mul_f32_e32 v78, 0x3f7d64f0, v85
	v_add_f32_e32 v75, v72, v75
	v_mul_f32_e32 v72, 0xbf75a155, v70
	v_fma_f32 v74, 0xbf75a155, v69, -v74
	v_add_f32_e32 v38, v43, v38
	v_fmamk_f32 v43, v69, 0xbe11bafb, v78
	v_add_f32_e32 v71, v40, v71
	v_fmamk_f32 v87, v86, 0xbe903f40, v72
	v_fmac_f32_e32 v72, 0x3e903f40, v86
	v_add_f32_e32 v74, v74, v77
	v_mul_f32_e32 v77, 0xbe11bafb, v70
	v_add_f32_e32 v39, v43, v39
	v_mul_f32_e32 v43, 0x3f0a6770, v85
	v_add_f32_e32 v76, v87, v76
	v_add_f32_e32 v79, v72, v79
	v_fmamk_f32 v72, v86, 0xbf7d64f0, v77
	v_fma_f32 v78, 0xbe11bafb, v69, -v78
	v_fmac_f32_e32 v77, 0x3f7d64f0, v86
	v_fmamk_f32 v87, v69, 0x3f575c64, v43
	v_mul_f32_e32 v85, 0x3f575c64, v70
	v_add_f32_e32 v81, v41, v81
	v_add_f32_e32 v78, v78, v83
	;; [unrolled: 1-line block ×4, first 2 shown]
	v_sub_f32_e32 v84, v51, v33
	v_sub_f32_e32 v87, v50, v32
	v_fmamk_f32 v88, v86, 0xbf0a6770, v85
	v_add_f32_e32 v82, v72, v82
	v_fma_f32 v43, 0x3f575c64, v69, -v43
	v_add_f32_e32 v72, v32, v50
	v_add_f32_e32 v71, v33, v51
	v_mul_f32_e32 v50, 0xbf7d64f0, v84
	v_mul_f32_e32 v51, 0xbf7d64f0, v87
	;; [unrolled: 1-line block ×3, first 2 shown]
	v_add_f32_e32 v81, v88, v81
	v_add_f32_e32 v32, v43, v34
	v_fmamk_f32 v34, v72, 0xbe11bafb, v50
	v_fma_f32 v43, 0xbe11bafb, v71, -v51
	v_fmamk_f32 v88, v72, 0xbf75a155, v33
	v_add_f32_e32 v80, v41, v80
	v_fmac_f32_e32 v85, 0x3f0a6770, v86
	v_mul_f32_e32 v86, 0xbf75a155, v71
	v_add_f32_e32 v34, v34, v42
	v_add_f32_e32 v42, v43, v48
	;; [unrolled: 1-line block ×3, first 2 shown]
	v_fma_f32 v33, 0xbf75a155, v72, -v33
	v_mul_f32_e32 v73, 0x3f68dda4, v84
	v_add_f32_e32 v80, v85, v80
	v_fmamk_f32 v43, v87, 0xbe903f40, v86
	v_mul_f32_e32 v85, 0xbf0a6770, v84
	v_add_f32_e32 v33, v33, v35
	v_fmamk_f32 v35, v72, 0x3ed4b147, v73
	v_fmac_f32_e32 v86, 0x3e903f40, v87
	v_add_f32_e32 v43, v43, v75
	v_mul_f32_e32 v75, 0x3ed4b147, v71
	v_fma_f32 v73, 0x3ed4b147, v72, -v73
	v_add_f32_e32 v35, v35, v38
	v_fmamk_f32 v38, v72, 0x3f575c64, v85
	v_add_f32_e32 v49, v86, v49
	v_fmamk_f32 v86, v87, 0xbf68dda4, v75
	v_fmac_f32_e32 v75, 0x3f68dda4, v87
	v_add_f32_e32 v88, v73, v74
	v_add_f32_e32 v38, v38, v39
	v_mul_f32_e32 v39, 0xbf4178ce, v84
	v_mul_f32_e32 v84, 0xbf27a4f4, v71
	;; [unrolled: 1-line block ×3, first 2 shown]
	v_add_f32_e32 v79, v75, v79
	v_fma_f32 v75, 0x3f575c64, v72, -v85
	v_add_f32_e32 v86, v86, v76
	v_fmamk_f32 v85, v87, 0x3f4178ce, v84
	v_fmamk_f32 v74, v87, 0x3f0a6770, v73
	v_fmac_f32_e32 v73, 0xbf0a6770, v87
	v_fmamk_f32 v76, v72, 0xbf27a4f4, v39
	v_sub_f32_e32 v89, v44, v30
	v_add_f32_e32 v81, v85, v81
	v_sub_f32_e32 v85, v45, v31
	v_add_f32_e32 v82, v74, v82
	v_add_f32_e32 v78, v75, v78
	;; [unrolled: 1-line block ×4, first 2 shown]
	v_fma_f32 v39, 0xbf27a4f4, v72, -v39
	v_add_f32_e32 v76, v30, v44
	v_add_f32_e32 v75, v31, v45
	v_mul_f32_e32 v73, 0xbf4178ce, v85
	v_mul_f32_e32 v74, 0xbf4178ce, v89
	;; [unrolled: 1-line block ×3, first 2 shown]
	v_add_f32_e32 v30, v39, v32
	v_mul_f32_e32 v44, 0xbe11bafb, v75
	v_fmamk_f32 v32, v76, 0xbf27a4f4, v73
	v_fma_f32 v39, 0xbf27a4f4, v75, -v74
	v_fmamk_f32 v45, v76, 0xbe11bafb, v31
	v_fma_f32 v31, 0xbe11bafb, v76, -v31
	v_fmac_f32_e32 v84, 0xbf4178ce, v87
	v_add_f32_e32 v32, v32, v34
	v_add_f32_e32 v34, v39, v42
	;; [unrolled: 1-line block ×3, first 2 shown]
	v_mul_f32_e32 v45, 0xbf0a6770, v85
	v_add_f32_e32 v31, v31, v33
	v_mul_f32_e32 v48, 0xbe903f40, v85
	v_fmamk_f32 v39, v89, 0xbf7d64f0, v44
	v_fmac_f32_e32 v44, 0x3f7d64f0, v89
	v_fmamk_f32 v33, v76, 0x3f575c64, v45
	v_add_f32_e32 v84, v84, v80
	v_mul_f32_e32 v80, 0xbf75a155, v75
	v_add_f32_e32 v43, v39, v43
	v_mul_f32_e32 v39, 0x3f575c64, v75
	v_add_f32_e32 v33, v33, v35
	v_fmamk_f32 v35, v76, 0xbf75a155, v48
	v_add_f32_e32 v44, v44, v49
	v_fma_f32 v45, 0x3f575c64, v76, -v45
	v_fmamk_f32 v49, v89, 0x3f0a6770, v39
	v_fmac_f32_e32 v39, 0xbf0a6770, v89
	v_add_f32_e32 v87, v35, v38
	v_mul_f32_e32 v38, 0x3ed4b147, v75
	v_mul_f32_e32 v35, 0x3f68dda4, v85
	v_add_f32_e32 v49, v49, v86
	v_add_f32_e32 v86, v39, v79
	v_fmamk_f32 v39, v89, 0x3e903f40, v80
	v_fmamk_f32 v85, v89, 0xbf68dda4, v38
	v_fmac_f32_e32 v80, 0xbe903f40, v89
	v_fmamk_f32 v79, v76, 0x3ed4b147, v35
	v_add_f32_e32 v45, v45, v88
	v_fma_f32 v48, 0xbf75a155, v76, -v48
	v_add_f32_e32 v81, v85, v81
	v_sub_f32_e32 v85, v47, v29
	v_add_f32_e32 v88, v80, v77
	v_add_f32_e32 v83, v79, v83
	v_sub_f32_e32 v90, v46, v28
	v_add_f32_e32 v79, v28, v46
	v_mul_f32_e32 v77, 0xbe903f40, v85
	v_add_f32_e32 v48, v48, v78
	v_fma_f32 v35, 0x3ed4b147, v76, -v35
	v_add_f32_e32 v80, v29, v47
	v_mul_f32_e32 v78, 0xbe903f40, v90
	v_fmac_f32_e32 v38, 0x3f68dda4, v89
	v_mul_f32_e32 v29, 0x3f0a6770, v85
	v_fmamk_f32 v28, v79, 0xbf75a155, v77
	v_add_f32_e32 v89, v35, v30
	v_fma_f32 v30, 0xbf75a155, v80, -v78
	v_add_f32_e32 v84, v38, v84
	v_fmamk_f32 v35, v79, 0x3f575c64, v29
	v_mul_f32_e32 v46, 0x3f575c64, v80
	v_add_f32_e32 v38, v28, v32
	v_mul_f32_e32 v32, 0xbf4178ce, v85
	v_add_f32_e32 v82, v39, v82
	v_add_f32_e32 v39, v30, v34
	v_add_f32_e32 v28, v35, v42
	v_fmamk_f32 v30, v90, 0xbf0a6770, v46
	v_fma_f32 v34, 0x3f575c64, v79, -v29
	v_fmamk_f32 v42, v79, 0xbf27a4f4, v32
	v_mul_f32_e32 v47, 0xbf27a4f4, v80
	v_fmac_f32_e32 v46, 0x3f0a6770, v90
	v_add_f32_e32 v29, v30, v43
	v_add_f32_e32 v34, v34, v31
	;; [unrolled: 1-line block ×3, first 2 shown]
	v_fmamk_f32 v31, v90, 0x3f4178ce, v47
	v_mul_f32_e32 v42, 0x3f68dda4, v85
	v_fma_f32 v32, 0xbf27a4f4, v79, -v32
	v_mul_f32_e32 v43, 0x3ed4b147, v80
	v_add_f32_e32 v35, v46, v44
	v_fmac_f32_e32 v47, 0xbf4178ce, v90
	v_add_f32_e32 v31, v31, v49
	v_fmamk_f32 v44, v79, 0x3ed4b147, v42
	v_add_f32_e32 v32, v32, v45
	v_fmamk_f32 v45, v90, 0xbf68dda4, v43
	v_fma_f32 v42, 0x3ed4b147, v79, -v42
	v_mul_f32_e32 v49, 0xbf7d64f0, v85
	v_mul_f32_e32 v85, 0xbe11bafb, v80
	v_add_f32_e32 v33, v47, v86
	v_add_f32_e32 v46, v44, v87
	;; [unrolled: 1-line block ×4, first 2 shown]
	v_fmac_f32_e32 v43, 0x3f68dda4, v90
	v_fmamk_f32 v42, v79, 0xbe11bafb, v49
	v_fmamk_f32 v82, v90, 0x3f7d64f0, v85
	v_fma_f32 v86, 0xbe11bafb, v79, -v49
	v_fmac_f32_e32 v85, 0xbf7d64f0, v90
	v_add_f32_e32 v45, v43, v88
	v_add_f32_e32 v48, v42, v83
	;; [unrolled: 1-line block ×5, first 2 shown]
	s_barrier
	buffer_gl0_inv
	s_and_saveexec_b32 s1, vcc_lo
	s_cbranch_execz .LBB0_17
; %bb.16:
	v_mul_f32_e32 v66, 0x3f575c64, v66
	v_mul_f32_e32 v64, 0x3f575c64, v64
	;; [unrolled: 1-line block ×5, first 2 shown]
	v_add_f32_e32 v65, v65, v66
	v_sub_f32_e32 v63, v64, v63
	v_mul_f32_e32 v66, 0xbe11bafb, v71
	v_add_f32_e32 v68, v68, v70
	v_mul_f32_e32 v64, 0xbf27a4f4, v76
	v_add_f32_e32 v41, v41, v65
	v_sub_f32_e32 v65, v69, v67
	v_add_f32_e32 v40, v40, v63
	v_mul_f32_e32 v63, 0xbf27a4f4, v75
	v_add_f32_e32 v51, v51, v66
	v_add_f32_e32 v41, v68, v41
	v_sub_f32_e32 v50, v72, v50
	v_add_f32_e32 v40, v65, v40
	v_mul_f32_e32 v65, 0xbf75a155, v80
	v_add_f32_e32 v63, v74, v63
	v_add_f32_e32 v41, v51, v41
	v_sub_f32_e32 v51, v64, v73
	v_add_f32_e32 v40, v50, v40
	v_mul_f32_e32 v50, 0xbf75a155, v79
	v_and_b32_e32 v62, 0xffff, v62
	v_add_f32_e32 v41, v63, v41
	v_add_f32_e32 v63, v78, v65
	;; [unrolled: 1-line block ×3, first 2 shown]
	v_sub_f32_e32 v50, v50, v77
	v_lshl_add_u32 v51, v62, 3, v57
	v_add_f32_e32 v41, v63, v41
	v_add_f32_e32 v40, v50, v40
	ds_write2_b64 v51, v[36:37], v[38:39] offset1:1
	ds_write2_b64 v51, v[28:29], v[30:31] offset0:2 offset1:3
	ds_write2_b64 v51, v[46:47], v[48:49] offset0:4 offset1:5
	;; [unrolled: 1-line block ×4, first 2 shown]
	ds_write_b64 v51, v[40:41] offset:80
.LBB0_17:
	s_or_b32 exec_lo, exec_lo, s1
	s_waitcnt lgkmcnt(0)
	s_barrier
	buffer_gl0_inv
	s_and_saveexec_b32 s1, s0
	s_cbranch_execz .LBB0_19
; %bb.18:
	v_add_nc_u32_e32 v32, 0x800, v58
	v_add_nc_u32_e32 v33, 0xc00, v58
	;; [unrolled: 1-line block ×3, first 2 shown]
	ds_read2_b64 v[36:39], v58 offset1:77
	ds_read2_b64 v[28:31], v58 offset0:154 offset1:231
	ds_read2_b64 v[46:49], v32 offset0:52 offset1:129
	;; [unrolled: 1-line block ×4, first 2 shown]
.LBB0_19:
	s_or_b32 exec_lo, exec_lo, s1
	s_waitcnt lgkmcnt(0)
	s_barrier
	buffer_gl0_inv
	s_and_saveexec_b32 s1, s0
	s_cbranch_execz .LBB0_21
; %bb.20:
	v_mul_f32_e32 v40, v3, v46
	v_mul_f32_e32 v41, v15, v42
	;; [unrolled: 1-line block ×5, first 2 shown]
	v_fma_f32 v40, v2, v47, -v40
	v_fma_f32 v41, v14, v43, -v41
	v_mul_f32_e32 v62, v7, v29
	v_mul_f32_e32 v11, v11, v33
	v_fma_f32 v7, v6, v29, -v50
	v_fma_f32 v29, v10, v33, -v51
	v_add_f32_e32 v33, v41, v40
	v_fmac_f32_e32 v15, v14, v42
	v_mul_f32_e32 v14, v9, v45
	v_mul_f32_e32 v9, v9, v44
	v_fmac_f32_e32 v62, v6, v28
	v_fmac_f32_e32 v11, v10, v32
	v_fma_f32 v28, -0.5, v33, v37
	v_mul_f32_e32 v32, v3, v47
	v_mul_f32_e32 v33, v1, v31
	;; [unrolled: 1-line block ×4, first 2 shown]
	v_fmac_f32_e32 v14, v8, v44
	v_fma_f32 v8, v8, v45, -v9
	v_mul_f32_e32 v1, v1, v30
	v_mul_f32_e32 v9, v54, v34
	v_fmac_f32_e32 v32, v2, v46
	v_mul_f32_e32 v2, v54, v35
	v_fmac_f32_e32 v33, v0, v30
	v_fmac_f32_e32 v43, v12, v48
	v_mul_f32_e32 v42, v5, v39
	v_fma_f32 v12, v12, v49, -v13
	v_mul_f32_e32 v5, v5, v38
	v_fma_f32 v0, v0, v31, -v1
	v_fma_f32 v9, v53, v35, -v9
	v_sub_f32_e32 v3, v62, v11
	v_fmac_f32_e32 v2, v53, v34
	v_fmac_f32_e32 v42, v4, v38
	v_fma_f32 v4, v4, v39, -v5
	v_add_f32_e32 v5, v8, v12
	v_sub_f32_e32 v34, v0, v12
	v_sub_f32_e32 v35, v9, v8
	;; [unrolled: 1-line block ×4, first 2 shown]
	v_fma_f32 v30, -0.5, v5, v4
	v_sub_f32_e32 v5, v33, v2
	v_add_f32_e32 v34, v35, v34
	v_fmamk_f32 v35, v3, 0xbf737871, v28
	v_sub_f32_e32 v47, v32, v15
	v_fmac_f32_e32 v28, 0x3f737871, v3
	v_add_f32_e32 v13, v14, v43
	v_sub_f32_e32 v31, v0, v9
	v_fmamk_f32 v38, v5, 0xbf737871, v30
	v_sub_f32_e32 v39, v43, v14
	v_add_f32_e32 v6, v10, v6
	v_fmac_f32_e32 v35, 0xbf167918, v47
	v_add_f32_e32 v49, v9, v0
	v_sub_f32_e32 v63, v12, v0
	v_fmac_f32_e32 v30, 0x3f737871, v5
	v_fmac_f32_e32 v28, 0x3f167918, v47
	v_add_f32_e32 v0, v0, v4
	v_fma_f32 v13, -0.5, v13, v42
	v_sub_f32_e32 v46, v12, v8
	v_fmac_f32_e32 v38, 0xbf167918, v39
	v_fmac_f32_e32 v35, 0x3e9e377a, v6
	v_add_f32_e32 v48, v29, v7
	v_sub_f32_e32 v50, v40, v7
	v_fma_f32 v49, -0.5, v49, v4
	v_fmac_f32_e32 v30, 0x3f167918, v39
	v_fmac_f32_e32 v28, 0x3e9e377a, v6
	v_add_f32_e32 v6, v7, v37
	v_sub_f32_e32 v4, v7, v29
	v_add_f32_e32 v0, v12, v0
	v_sub_f32_e32 v7, v62, v32
	v_sub_f32_e32 v12, v11, v15
	;; [unrolled: 1-line block ×4, first 2 shown]
	v_fmamk_f32 v45, v31, 0x3f737871, v13
	v_fmac_f32_e32 v38, 0x3e9e377a, v34
	v_sub_f32_e32 v64, v8, v9
	v_fmac_f32_e32 v13, 0xbf737871, v31
	v_fmac_f32_e32 v30, 0x3e9e377a, v34
	v_add_f32_e32 v34, v15, v32
	v_add_f32_e32 v6, v40, v6
	;; [unrolled: 1-line block ×6, first 2 shown]
	v_fmac_f32_e32 v45, 0x3f167918, v46
	v_add_f32_e32 v51, v2, v33
	v_fmamk_f32 v65, v39, 0x3f737871, v49
	v_fmac_f32_e32 v49, 0xbf737871, v39
	v_fmac_f32_e32 v13, 0xbf167918, v46
	v_fma_f32 v34, -0.5, v34, v36
	v_sub_f32_e32 v39, v40, v41
	v_add_f32_e32 v6, v41, v6
	v_fma_f32 v40, -0.5, v7, v36
	v_add_f32_e32 v36, v62, v36
	v_fmac_f32_e32 v45, 0x3e9e377a, v44
	v_sub_f32_e32 v53, v41, v29
	v_sub_f32_e32 v54, v43, v33
	v_fma_f32 v51, -0.5, v51, v42
	v_fmac_f32_e32 v13, 0x3e9e377a, v44
	v_add_f32_e32 v6, v29, v6
	v_sub_f32_e32 v29, v32, v62
	v_fmamk_f32 v44, v39, 0xbf737871, v40
	v_fmac_f32_e32 v40, 0x3f737871, v39
	v_add_f32_e32 v33, v33, v42
	v_add_f32_e32 v32, v32, v36
	v_fma_f32 v48, -0.5, v48, v37
	v_fmamk_f32 v67, v46, 0xbf737871, v51
	v_fmac_f32_e32 v51, 0x3f737871, v46
	v_fmamk_f32 v37, v4, 0x3f737871, v34
	v_fmac_f32_e32 v44, 0x3f167918, v4
	v_fmac_f32_e32 v40, 0xbf167918, v4
	v_add_f32_e32 v33, v43, v33
	v_fmac_f32_e32 v34, 0xbf737871, v4
	v_add_f32_e32 v4, v15, v32
	v_sub_f32_e32 v66, v14, v2
	v_add_f32_e32 v63, v64, v63
	v_fmac_f32_e32 v65, 0xbf167918, v5
	v_fmac_f32_e32 v49, 0x3f167918, v5
	v_mul_f32_e32 v10, 0xbf4f1bbd, v38
	v_fmac_f32_e32 v67, 0x3f167918, v31
	v_fmac_f32_e32 v51, 0xbf167918, v31
	v_mul_f32_e32 v31, 0x3f4f1bbd, v30
	v_sub_f32_e32 v41, v15, v11
	v_add_f32_e32 v14, v14, v33
	v_mul_f32_e32 v32, 0xbf167918, v30
	v_add_f32_e32 v30, v11, v4
	v_mov_b32_e32 v11, 0x6e
	v_fmamk_f32 v68, v47, 0x3f737871, v48
	v_add_f32_e32 v54, v66, v54
	v_fmac_f32_e32 v65, 0x3e9e377a, v63
	v_fmac_f32_e32 v48, 0xbf737871, v47
	;; [unrolled: 1-line block ×5, first 2 shown]
	v_add_f32_e32 v2, v2, v14
	v_mul_u32_u24_sdwa v14, v60, v11 dst_sel:DWORD dst_unused:UNUSED_PAD src0_sel:WORD_0 src1_sel:DWORD
	v_add_f32_e32 v50, v53, v50
	v_fmac_f32_e32 v68, 0xbf167918, v3
	v_fmac_f32_e32 v67, 0x3e9e377a, v54
	v_mul_f32_e32 v53, 0xbe9e377a, v65
	v_fmac_f32_e32 v48, 0x3f167918, v3
	v_fmac_f32_e32 v51, 0x3e9e377a, v54
	v_mul_f32_e32 v54, 0x3e9e377a, v49
	v_add_f32_e32 v29, v41, v29
	v_mul_f32_e32 v41, 0xbf737871, v65
	v_mul_f32_e32 v36, 0xbf737871, v49
	v_fmac_f32_e32 v37, 0x3f167918, v39
	v_mul_f32_e32 v38, 0xbf167918, v38
	v_sub_f32_e32 v1, v35, v10
	v_fmac_f32_e32 v31, 0x3f167918, v13
	v_add_f32_e32 v12, v9, v0
	v_fmac_f32_e32 v34, 0x3e9e377a, v8
	v_fmac_f32_e32 v32, 0x3f4f1bbd, v13
	v_add_f32_e32 v11, v35, v10
	v_add_nc_u32_e32 v10, v14, v59
	v_fmac_f32_e32 v68, 0x3e9e377a, v50
	v_fmac_f32_e32 v53, 0x3f737871, v67
	;; [unrolled: 1-line block ×10, first 2 shown]
	v_sub_f32_e32 v7, v28, v31
	v_sub_f32_e32 v8, v30, v2
	v_add_f32_e32 v29, v28, v31
	v_add_f32_e32 v31, v6, v12
	;; [unrolled: 1-line block ×4, first 2 shown]
	v_lshl_add_u32 v33, v10, 3, v57
	v_sub_f32_e32 v9, v6, v12
	v_add_f32_e32 v13, v68, v53
	v_add_f32_e32 v15, v48, v54
	;; [unrolled: 1-line block ×5, first 2 shown]
	v_sub_f32_e32 v5, v48, v54
	v_sub_f32_e32 v4, v40, v36
	;; [unrolled: 1-line block ×6, first 2 shown]
	ds_write2_b64 v33, v[30:31], v[28:29] offset1:11
	ds_write2_b64 v33, v[14:15], v[12:13] offset0:22 offset1:33
	ds_write2_b64 v33, v[10:11], v[8:9] offset0:44 offset1:55
	ds_write2_b64 v33, v[6:7], v[4:5] offset0:66 offset1:77
	ds_write2_b64 v33, v[2:3], v[0:1] offset0:88 offset1:99
.LBB0_21:
	s_or_b32 exec_lo, exec_lo, s1
	s_waitcnt lgkmcnt(0)
	s_barrier
	buffer_gl0_inv
	ds_read2_b64 v[0:3], v58 offset1:110
	v_add_nc_u32_e32 v4, 0x400, v58
	v_add_nc_u32_e32 v8, 0xc00, v58
	ds_read_b64 v[12:13], v58 offset:5280
	ds_read2_b64 v[4:7], v4 offset0:92 offset1:202
	ds_read2_b64 v[8:11], v8 offset0:56 offset1:166
	s_waitcnt lgkmcnt(3)
	v_mul_f32_e32 v14, v25, v3
	v_mul_f32_e32 v15, v25, v2
	s_waitcnt lgkmcnt(2)
	v_mul_f32_e32 v25, v19, v13
	v_mul_f32_e32 v19, v19, v12
	v_fmac_f32_e32 v14, v24, v2
	v_fma_f32 v2, v24, v3, -v15
	s_waitcnt lgkmcnt(1)
	v_mul_f32_e32 v3, v27, v5
	v_mul_f32_e32 v15, v27, v4
	;; [unrolled: 1-line block ×4, first 2 shown]
	s_waitcnt lgkmcnt(0)
	v_mul_f32_e32 v28, v17, v11
	v_mul_f32_e32 v17, v17, v10
	;; [unrolled: 1-line block ×4, first 2 shown]
	v_fmac_f32_e32 v25, v18, v12
	v_fma_f32 v12, v18, v13, -v19
	v_fmac_f32_e32 v3, v26, v4
	v_fma_f32 v4, v26, v5, -v15
	v_fma_f32 v5, v20, v7, -v21
	v_fmac_f32_e32 v28, v16, v10
	v_fma_f32 v7, v16, v11, -v17
	v_fmac_f32_e32 v24, v20, v6
	v_fmac_f32_e32 v27, v22, v8
	v_fma_f32 v6, v22, v9, -v23
	v_add_f32_e32 v8, v14, v25
	v_add_f32_e32 v9, v2, v12
	v_sub_f32_e32 v2, v2, v12
	v_add_f32_e32 v11, v3, v28
	v_add_f32_e32 v12, v4, v7
	v_sub_f32_e32 v10, v14, v25
	v_sub_f32_e32 v3, v3, v28
	;; [unrolled: 1-line block ×3, first 2 shown]
	v_add_f32_e32 v7, v24, v27
	v_add_f32_e32 v13, v5, v6
	v_sub_f32_e32 v14, v27, v24
	v_sub_f32_e32 v5, v6, v5
	v_add_f32_e32 v6, v11, v8
	v_add_f32_e32 v15, v12, v9
	v_sub_f32_e32 v16, v11, v8
	v_sub_f32_e32 v17, v12, v9
	;; [unrolled: 1-line block ×6, first 2 shown]
	v_add_f32_e32 v18, v14, v3
	v_add_f32_e32 v19, v5, v4
	v_sub_f32_e32 v20, v14, v3
	v_sub_f32_e32 v21, v5, v4
	;; [unrolled: 1-line block ×3, first 2 shown]
	v_add_f32_e32 v6, v7, v6
	v_add_f32_e32 v7, v13, v15
	v_sub_f32_e32 v4, v4, v2
	v_sub_f32_e32 v14, v10, v14
	;; [unrolled: 1-line block ×3, first 2 shown]
	v_add_f32_e32 v10, v18, v10
	v_add_f32_e32 v13, v19, v2
	;; [unrolled: 1-line block ×4, first 2 shown]
	v_mul_f32_e32 v0, 0x3f4a47b2, v8
	v_mul_f32_e32 v1, 0x3f4a47b2, v9
	;; [unrolled: 1-line block ×8, first 2 shown]
	v_fmamk_f32 v6, v6, 0xbf955555, v2
	v_fmamk_f32 v7, v7, 0xbf955555, v3
	;; [unrolled: 1-line block ×4, first 2 shown]
	v_fma_f32 v8, 0x3f3bfb3b, v16, -v8
	v_fma_f32 v9, 0x3f3bfb3b, v17, -v9
	;; [unrolled: 1-line block ×4, first 2 shown]
	v_fmamk_f32 v16, v14, 0xbeae86e6, v15
	v_fmamk_f32 v17, v5, 0xbeae86e6, v18
	v_fma_f32 v15, 0xbf5ff5aa, v22, -v15
	v_fma_f32 v18, 0xbf5ff5aa, v4, -v18
	;; [unrolled: 1-line block ×4, first 2 shown]
	v_add_f32_e32 v20, v11, v6
	v_add_f32_e32 v21, v12, v7
	v_add_f32_e32 v11, v8, v6
	v_add_f32_e32 v12, v9, v7
	v_add_f32_e32 v0, v0, v6
	v_add_f32_e32 v1, v1, v7
	v_fmac_f32_e32 v16, 0xbee1c552, v10
	v_fmac_f32_e32 v17, 0xbee1c552, v13
	;; [unrolled: 1-line block ×6, first 2 shown]
	v_add_f32_e32 v4, v17, v20
	v_sub_f32_e32 v5, v21, v16
	v_add_f32_e32 v6, v19, v0
	v_sub_f32_e32 v7, v1, v14
	v_sub_f32_e32 v8, v11, v18
	v_add_f32_e32 v9, v15, v12
	v_add_f32_e32 v10, v18, v11
	v_sub_f32_e32 v11, v12, v15
	v_sub_f32_e32 v12, v0, v19
	v_add_f32_e32 v13, v14, v1
	v_add_nc_u32_e32 v0, 0x400, v61
	v_add_nc_u32_e32 v1, 0xc00, v61
	v_sub_f32_e32 v14, v20, v17
	v_add_f32_e32 v15, v16, v21
	ds_write2_b64 v61, v[2:3], v[4:5] offset1:110
	ds_write2_b64 v0, v[6:7], v[8:9] offset0:92 offset1:202
	ds_write2_b64 v1, v[10:11], v[12:13] offset0:56 offset1:166
	ds_write_b64 v61, v[14:15] offset:5280
	s_waitcnt lgkmcnt(0)
	s_barrier
	buffer_gl0_inv
	s_and_b32 exec_lo, exec_lo, vcc_lo
	s_cbranch_execz .LBB0_23
; %bb.22:
	v_add_co_u32 v4, s0, s14, v56
	v_add_co_ci_u32_e64 v5, null, s15, 0, s0
	s_clause 0x3
	global_load_dwordx2 v[22:23], v56, s[14:15]
	global_load_dwordx2 v[24:25], v56, s[14:15] offset:560
	global_load_dwordx2 v[26:27], v56, s[14:15] offset:1120
	;; [unrolled: 1-line block ×3, first 2 shown]
	v_add_co_u32 v2, vcc_lo, 0x800, v4
	v_add_co_ci_u32_e32 v3, vcc_lo, 0, v5, vcc_lo
	v_add_co_u32 v4, vcc_lo, 0x1000, v4
	v_add_co_ci_u32_e32 v5, vcc_lo, 0, v5, vcc_lo
	s_clause 0x6
	global_load_dwordx2 v[30:31], v[2:3], off offset:192
	global_load_dwordx2 v[32:33], v[2:3], off offset:752
	;; [unrolled: 1-line block ×7, first 2 shown]
	v_mad_u64_u32 v[6:7], null, s4, v55, 0
	v_mad_u64_u32 v[2:3], null, s6, v52, 0
	ds_read_b64 v[44:45], v61
	v_add_nc_u32_e32 v14, 0x800, v61
	v_add_nc_u32_e32 v18, 0x1000, v61
	ds_read2_b64 v[10:13], v1 offset0:106 offset1:176
	v_mov_b32_e32 v4, v7
	s_mul_i32 s2, s5, 0x230
	ds_read2_b64 v[14:17], v14 offset0:94 offset1:164
	ds_read2_b64 v[18:21], v18 offset0:118 offset1:188
	s_mul_hi_u32 s3, s4, 0x230
	v_mad_u64_u32 v[7:8], null, s7, v52, v[3:4]
	v_mad_u64_u32 v[4:5], null, s5, v55, v[4:5]
	s_mulk_i32 s4, 0x230
	s_mov_b32 s0, 0xe6bb82fe
	s_add_i32 s3, s3, s2
	s_mov_b32 s1, 0x3f554725
	v_mov_b32_e32 v3, v7
	v_mov_b32_e32 v7, v4
	v_lshlrev_b64 v[8:9], 3, v[2:3]
	ds_read2_b64 v[2:5], v61 offset0:70 offset1:140
	v_lshlrev_b64 v[6:7], 3, v[6:7]
	v_add_co_u32 v8, vcc_lo, s12, v8
	v_add_co_ci_u32_e32 v9, vcc_lo, s13, v9, vcc_lo
	v_add_co_u32 v46, vcc_lo, v8, v6
	v_add_co_ci_u32_e32 v47, vcc_lo, v9, v7, vcc_lo
	ds_read2_b64 v[6:9], v0 offset0:82 offset1:152
	v_add_co_u32 v48, vcc_lo, v46, s4
	v_add_co_ci_u32_e32 v49, vcc_lo, s3, v47, vcc_lo
	v_add_co_u32 v50, vcc_lo, v48, s4
	v_add_co_ci_u32_e32 v51, vcc_lo, s3, v49, vcc_lo
	;; [unrolled: 2-line block ×7, first 2 shown]
	s_waitcnt vmcnt(10) lgkmcnt(5)
	v_mul_f32_e32 v60, v45, v23
	s_waitcnt vmcnt(9) lgkmcnt(1)
	v_mul_f32_e32 v61, v3, v25
	s_waitcnt vmcnt(8)
	v_mul_f32_e32 v62, v5, v27
	s_waitcnt vmcnt(7) lgkmcnt(0)
	v_mul_f32_e32 v63, v7, v29
	v_mul_f32_e32 v23, v44, v23
	v_mul_f32_e32 v25, v2, v25
	v_fmac_f32_e32 v60, v44, v22
	v_mul_f32_e32 v29, v6, v29
	v_fmac_f32_e32 v61, v2, v24
	v_fmac_f32_e32 v62, v4, v26
	v_mul_f32_e32 v27, v4, v27
	v_fmac_f32_e32 v63, v6, v28
	v_fma_f32 v22, v22, v45, -v23
	v_fma_f32 v23, v24, v3, -v25
	v_cvt_f64_f32_e32 v[2:3], v60
	s_waitcnt vmcnt(6)
	v_mul_f32_e32 v60, v9, v31
	v_mul_f32_e32 v31, v8, v31
	v_fma_f32 v44, v28, v7, -v29
	v_cvt_f64_f32_e32 v[6:7], v61
	s_waitcnt vmcnt(5)
	v_mul_f32_e32 v61, v15, v33
	v_mul_f32_e32 v33, v14, v33
	v_cvt_f64_f32_e32 v[24:25], v62
	s_waitcnt vmcnt(4)
	v_mul_f32_e32 v62, v17, v35
	v_mul_f32_e32 v35, v16, v35
	v_fma_f32 v26, v26, v5, -v27
	v_cvt_f64_f32_e32 v[28:29], v63
	s_waitcnt vmcnt(3)
	v_mul_f32_e32 v63, v11, v37
	v_mul_f32_e32 v37, v10, v37
	s_waitcnt vmcnt(2)
	v_mul_f32_e32 v64, v13, v39
	v_mul_f32_e32 v39, v12, v39
	;; [unrolled: 3-line block ×3, first 2 shown]
	v_fmac_f32_e32 v60, v8, v30
	v_fma_f32 v30, v30, v9, -v31
	v_cvt_f64_f32_e32 v[4:5], v22
	s_waitcnt vmcnt(0)
	v_mul_f32_e32 v66, v21, v43
	v_mul_f32_e32 v43, v20, v43
	v_fmac_f32_e32 v61, v14, v32
	v_fma_f32 v14, v32, v15, -v33
	v_cvt_f64_f32_e32 v[22:23], v23
	v_fmac_f32_e32 v62, v16, v34
	v_fma_f32 v31, v34, v17, -v35
	v_cvt_f64_f32_e32 v[26:27], v26
	v_fmac_f32_e32 v63, v10, v36
	v_fma_f32 v32, v36, v11, -v37
	v_cvt_f64_f32_e32 v[44:45], v44
	v_fmac_f32_e32 v64, v12, v38
	v_fma_f32 v34, v38, v13, -v39
	v_fmac_f32_e32 v65, v18, v40
	v_fma_f32 v38, v40, v19, -v41
	v_cvt_f64_f32_e32 v[8:9], v60
	v_cvt_f64_f32_e32 v[10:11], v30
	v_fmac_f32_e32 v66, v20, v42
	v_fma_f32 v42, v42, v21, -v43
	v_cvt_f64_f32_e32 v[12:13], v61
	v_cvt_f64_f32_e32 v[14:15], v14
	v_cvt_f64_f32_e32 v[16:17], v62
	v_cvt_f64_f32_e32 v[18:19], v31
	v_cvt_f64_f32_e32 v[20:21], v63
	v_cvt_f64_f32_e32 v[30:31], v32
	v_cvt_f64_f32_e32 v[32:33], v64
	v_cvt_f64_f32_e32 v[34:35], v34
	v_cvt_f64_f32_e32 v[36:37], v65
	v_cvt_f64_f32_e32 v[38:39], v38
	v_cvt_f64_f32_e32 v[40:41], v66
	v_cvt_f64_f32_e32 v[42:43], v42
	v_mul_f64 v[2:3], v[2:3], s[0:1]
	v_mul_f64 v[4:5], v[4:5], s[0:1]
	;; [unrolled: 1-line block ×22, first 2 shown]
	v_cvt_f32_f64_e32 v2, v[2:3]
	v_cvt_f32_f64_e32 v3, v[4:5]
	;; [unrolled: 1-line block ×22, first 2 shown]
	v_add_co_u32 v24, vcc_lo, v58, s4
	v_add_co_ci_u32_e32 v25, vcc_lo, s3, v59, vcc_lo
	v_add_co_u32 v26, vcc_lo, v24, s4
	v_add_co_ci_u32_e32 v27, vcc_lo, s3, v25, vcc_lo
	v_add_co_u32 v28, vcc_lo, v26, s4
	v_add_co_ci_u32_e32 v29, vcc_lo, s3, v27, vcc_lo
	global_store_dwordx2 v[46:47], v[2:3], off
	global_store_dwordx2 v[48:49], v[4:5], off
	;; [unrolled: 1-line block ×11, first 2 shown]
.LBB0_23:
	s_endpgm
	.section	.rodata,"a",@progbits
	.p2align	6, 0x0
	.amdhsa_kernel bluestein_single_back_len770_dim1_sp_op_CI_CI
		.amdhsa_group_segment_fixed_size 12320
		.amdhsa_private_segment_fixed_size 0
		.amdhsa_kernarg_size 104
		.amdhsa_user_sgpr_count 6
		.amdhsa_user_sgpr_private_segment_buffer 1
		.amdhsa_user_sgpr_dispatch_ptr 0
		.amdhsa_user_sgpr_queue_ptr 0
		.amdhsa_user_sgpr_kernarg_segment_ptr 1
		.amdhsa_user_sgpr_dispatch_id 0
		.amdhsa_user_sgpr_flat_scratch_init 0
		.amdhsa_user_sgpr_private_segment_size 0
		.amdhsa_wavefront_size32 1
		.amdhsa_uses_dynamic_stack 0
		.amdhsa_system_sgpr_private_segment_wavefront_offset 0
		.amdhsa_system_sgpr_workgroup_id_x 1
		.amdhsa_system_sgpr_workgroup_id_y 0
		.amdhsa_system_sgpr_workgroup_id_z 0
		.amdhsa_system_sgpr_workgroup_info 0
		.amdhsa_system_vgpr_workitem_id 0
		.amdhsa_next_free_vgpr 119
		.amdhsa_next_free_sgpr 16
		.amdhsa_reserve_vcc 1
		.amdhsa_reserve_flat_scratch 0
		.amdhsa_float_round_mode_32 0
		.amdhsa_float_round_mode_16_64 0
		.amdhsa_float_denorm_mode_32 3
		.amdhsa_float_denorm_mode_16_64 3
		.amdhsa_dx10_clamp 1
		.amdhsa_ieee_mode 1
		.amdhsa_fp16_overflow 0
		.amdhsa_workgroup_processor_mode 1
		.amdhsa_memory_ordered 1
		.amdhsa_forward_progress 0
		.amdhsa_shared_vgpr_count 0
		.amdhsa_exception_fp_ieee_invalid_op 0
		.amdhsa_exception_fp_denorm_src 0
		.amdhsa_exception_fp_ieee_div_zero 0
		.amdhsa_exception_fp_ieee_overflow 0
		.amdhsa_exception_fp_ieee_underflow 0
		.amdhsa_exception_fp_ieee_inexact 0
		.amdhsa_exception_int_div_zero 0
	.end_amdhsa_kernel
	.text
.Lfunc_end0:
	.size	bluestein_single_back_len770_dim1_sp_op_CI_CI, .Lfunc_end0-bluestein_single_back_len770_dim1_sp_op_CI_CI
                                        ; -- End function
	.section	.AMDGPU.csdata,"",@progbits
; Kernel info:
; codeLenInByte = 11308
; NumSgprs: 18
; NumVgprs: 119
; ScratchSize: 0
; MemoryBound: 0
; FloatMode: 240
; IeeeMode: 1
; LDSByteSize: 12320 bytes/workgroup (compile time only)
; SGPRBlocks: 2
; VGPRBlocks: 14
; NumSGPRsForWavesPerEU: 18
; NumVGPRsForWavesPerEU: 119
; Occupancy: 8
; WaveLimiterHint : 1
; COMPUTE_PGM_RSRC2:SCRATCH_EN: 0
; COMPUTE_PGM_RSRC2:USER_SGPR: 6
; COMPUTE_PGM_RSRC2:TRAP_HANDLER: 0
; COMPUTE_PGM_RSRC2:TGID_X_EN: 1
; COMPUTE_PGM_RSRC2:TGID_Y_EN: 0
; COMPUTE_PGM_RSRC2:TGID_Z_EN: 0
; COMPUTE_PGM_RSRC2:TIDIG_COMP_CNT: 0
	.text
	.p2alignl 6, 3214868480
	.fill 48, 4, 3214868480
	.type	__hip_cuid_15ecf9d0528e904,@object ; @__hip_cuid_15ecf9d0528e904
	.section	.bss,"aw",@nobits
	.globl	__hip_cuid_15ecf9d0528e904
__hip_cuid_15ecf9d0528e904:
	.byte	0                               ; 0x0
	.size	__hip_cuid_15ecf9d0528e904, 1

	.ident	"AMD clang version 19.0.0git (https://github.com/RadeonOpenCompute/llvm-project roc-6.4.0 25133 c7fe45cf4b819c5991fe208aaa96edf142730f1d)"
	.section	".note.GNU-stack","",@progbits
	.addrsig
	.addrsig_sym __hip_cuid_15ecf9d0528e904
	.amdgpu_metadata
---
amdhsa.kernels:
  - .args:
      - .actual_access:  read_only
        .address_space:  global
        .offset:         0
        .size:           8
        .value_kind:     global_buffer
      - .actual_access:  read_only
        .address_space:  global
        .offset:         8
        .size:           8
        .value_kind:     global_buffer
      - .actual_access:  read_only
        .address_space:  global
        .offset:         16
        .size:           8
        .value_kind:     global_buffer
      - .actual_access:  read_only
        .address_space:  global
        .offset:         24
        .size:           8
        .value_kind:     global_buffer
      - .actual_access:  read_only
        .address_space:  global
        .offset:         32
        .size:           8
        .value_kind:     global_buffer
      - .offset:         40
        .size:           8
        .value_kind:     by_value
      - .address_space:  global
        .offset:         48
        .size:           8
        .value_kind:     global_buffer
      - .address_space:  global
        .offset:         56
        .size:           8
        .value_kind:     global_buffer
      - .address_space:  global
        .offset:         64
        .size:           8
        .value_kind:     global_buffer
      - .address_space:  global
        .offset:         72
        .size:           8
        .value_kind:     global_buffer
      - .offset:         80
        .size:           4
        .value_kind:     by_value
      - .address_space:  global
        .offset:         88
        .size:           8
        .value_kind:     global_buffer
      - .address_space:  global
        .offset:         96
        .size:           8
        .value_kind:     global_buffer
    .group_segment_fixed_size: 12320
    .kernarg_segment_align: 8
    .kernarg_segment_size: 104
    .language:       OpenCL C
    .language_version:
      - 2
      - 0
    .max_flat_workgroup_size: 220
    .name:           bluestein_single_back_len770_dim1_sp_op_CI_CI
    .private_segment_fixed_size: 0
    .sgpr_count:     18
    .sgpr_spill_count: 0
    .symbol:         bluestein_single_back_len770_dim1_sp_op_CI_CI.kd
    .uniform_work_group_size: 1
    .uses_dynamic_stack: false
    .vgpr_count:     119
    .vgpr_spill_count: 0
    .wavefront_size: 32
    .workgroup_processor_mode: 1
amdhsa.target:   amdgcn-amd-amdhsa--gfx1030
amdhsa.version:
  - 1
  - 2
...

	.end_amdgpu_metadata
